;; amdgpu-corpus repo=ROCm/rocFFT kind=compiled arch=gfx1030 opt=O3
	.text
	.amdgcn_target "amdgcn-amd-amdhsa--gfx1030"
	.amdhsa_code_object_version 6
	.protected	fft_rtc_fwd_len224_factors_7_2_2_2_2_2_wgs_64_tpt_16_halfLds_half_op_CI_CI_unitstride_sbrr_C2R_dirReg ; -- Begin function fft_rtc_fwd_len224_factors_7_2_2_2_2_2_wgs_64_tpt_16_halfLds_half_op_CI_CI_unitstride_sbrr_C2R_dirReg
	.globl	fft_rtc_fwd_len224_factors_7_2_2_2_2_2_wgs_64_tpt_16_halfLds_half_op_CI_CI_unitstride_sbrr_C2R_dirReg
	.p2align	8
	.type	fft_rtc_fwd_len224_factors_7_2_2_2_2_2_wgs_64_tpt_16_halfLds_half_op_CI_CI_unitstride_sbrr_C2R_dirReg,@function
fft_rtc_fwd_len224_factors_7_2_2_2_2_2_wgs_64_tpt_16_halfLds_half_op_CI_CI_unitstride_sbrr_C2R_dirReg: ; @fft_rtc_fwd_len224_factors_7_2_2_2_2_2_wgs_64_tpt_16_halfLds_half_op_CI_CI_unitstride_sbrr_C2R_dirReg
; %bb.0:
	s_clause 0x2
	s_load_dwordx4 s[12:15], s[4:5], 0x0
	s_load_dwordx4 s[8:11], s[4:5], 0x58
	;; [unrolled: 1-line block ×3, first 2 shown]
	v_lshrrev_b32_e32 v7, 4, v0
	v_mov_b32_e32 v3, 0
	v_mov_b32_e32 v8, 0
	;; [unrolled: 1-line block ×3, first 2 shown]
	v_lshl_or_b32 v10, s6, 2, v7
	v_mov_b32_e32 v11, v3
	s_waitcnt lgkmcnt(0)
	v_cmp_lt_u64_e64 s0, s[14:15], 2
	s_and_b32 vcc_lo, exec_lo, s0
	s_cbranch_vccnz .LBB0_8
; %bb.1:
	s_load_dwordx2 s[0:1], s[4:5], 0x10
	v_mov_b32_e32 v8, 0
	v_mov_b32_e32 v9, 0
	s_add_u32 s2, s18, 8
	s_addc_u32 s3, s19, 0
	v_mov_b32_e32 v1, v8
	s_add_u32 s6, s16, 8
	v_mov_b32_e32 v2, v9
	s_addc_u32 s7, s17, 0
	s_mov_b64 s[22:23], 1
	s_waitcnt lgkmcnt(0)
	s_add_u32 s20, s0, 8
	s_addc_u32 s21, s1, 0
.LBB0_2:                                ; =>This Inner Loop Header: Depth=1
	s_load_dwordx2 s[24:25], s[20:21], 0x0
                                        ; implicit-def: $vgpr5_vgpr6
	s_mov_b32 s0, exec_lo
	s_waitcnt lgkmcnt(0)
	v_or_b32_e32 v4, s25, v11
	v_cmpx_ne_u64_e32 0, v[3:4]
	s_xor_b32 s1, exec_lo, s0
	s_cbranch_execz .LBB0_4
; %bb.3:                                ;   in Loop: Header=BB0_2 Depth=1
	v_cvt_f32_u32_e32 v4, s24
	v_cvt_f32_u32_e32 v5, s25
	s_sub_u32 s0, 0, s24
	s_subb_u32 s26, 0, s25
	v_fmac_f32_e32 v4, 0x4f800000, v5
	v_rcp_f32_e32 v4, v4
	v_mul_f32_e32 v4, 0x5f7ffffc, v4
	v_mul_f32_e32 v5, 0x2f800000, v4
	v_trunc_f32_e32 v5, v5
	v_fmac_f32_e32 v4, 0xcf800000, v5
	v_cvt_u32_f32_e32 v5, v5
	v_cvt_u32_f32_e32 v4, v4
	v_mul_lo_u32 v6, s0, v5
	v_mul_hi_u32 v12, s0, v4
	v_mul_lo_u32 v13, s26, v4
	v_add_nc_u32_e32 v6, v12, v6
	v_mul_lo_u32 v12, s0, v4
	v_add_nc_u32_e32 v6, v6, v13
	v_mul_hi_u32 v13, v4, v12
	v_mul_lo_u32 v14, v4, v6
	v_mul_hi_u32 v15, v4, v6
	v_mul_hi_u32 v16, v5, v12
	v_mul_lo_u32 v12, v5, v12
	v_mul_hi_u32 v17, v5, v6
	v_mul_lo_u32 v6, v5, v6
	v_add_co_u32 v13, vcc_lo, v13, v14
	v_add_co_ci_u32_e32 v14, vcc_lo, 0, v15, vcc_lo
	v_add_co_u32 v12, vcc_lo, v13, v12
	v_add_co_ci_u32_e32 v12, vcc_lo, v14, v16, vcc_lo
	v_add_co_ci_u32_e32 v13, vcc_lo, 0, v17, vcc_lo
	v_add_co_u32 v6, vcc_lo, v12, v6
	v_add_co_ci_u32_e32 v12, vcc_lo, 0, v13, vcc_lo
	v_add_co_u32 v4, vcc_lo, v4, v6
	v_add_co_ci_u32_e32 v5, vcc_lo, v5, v12, vcc_lo
	v_mul_hi_u32 v6, s0, v4
	v_mul_lo_u32 v13, s26, v4
	v_mul_lo_u32 v12, s0, v5
	v_add_nc_u32_e32 v6, v6, v12
	v_mul_lo_u32 v12, s0, v4
	v_add_nc_u32_e32 v6, v6, v13
	v_mul_hi_u32 v13, v4, v12
	v_mul_lo_u32 v14, v4, v6
	v_mul_hi_u32 v15, v4, v6
	v_mul_hi_u32 v16, v5, v12
	v_mul_lo_u32 v12, v5, v12
	v_mul_hi_u32 v17, v5, v6
	v_mul_lo_u32 v6, v5, v6
	v_add_co_u32 v13, vcc_lo, v13, v14
	v_add_co_ci_u32_e32 v14, vcc_lo, 0, v15, vcc_lo
	v_add_co_u32 v12, vcc_lo, v13, v12
	v_add_co_ci_u32_e32 v12, vcc_lo, v14, v16, vcc_lo
	v_add_co_ci_u32_e32 v13, vcc_lo, 0, v17, vcc_lo
	v_add_co_u32 v6, vcc_lo, v12, v6
	v_add_co_ci_u32_e32 v12, vcc_lo, 0, v13, vcc_lo
	v_add_co_u32 v6, vcc_lo, v4, v6
	v_add_co_ci_u32_e32 v14, vcc_lo, v5, v12, vcc_lo
	v_mul_hi_u32 v16, v10, v6
	v_mad_u64_u32 v[12:13], null, v11, v6, 0
	v_mad_u64_u32 v[4:5], null, v10, v14, 0
	;; [unrolled: 1-line block ×3, first 2 shown]
	v_add_co_u32 v4, vcc_lo, v16, v4
	v_add_co_ci_u32_e32 v5, vcc_lo, 0, v5, vcc_lo
	v_add_co_u32 v4, vcc_lo, v4, v12
	v_add_co_ci_u32_e32 v4, vcc_lo, v5, v13, vcc_lo
	v_add_co_ci_u32_e32 v5, vcc_lo, 0, v15, vcc_lo
	v_add_co_u32 v12, vcc_lo, v4, v14
	v_add_co_ci_u32_e32 v6, vcc_lo, 0, v5, vcc_lo
	v_mul_lo_u32 v13, s25, v12
	v_mad_u64_u32 v[4:5], null, s24, v12, 0
	v_mul_lo_u32 v14, s24, v6
	v_sub_co_u32 v4, vcc_lo, v10, v4
	v_add3_u32 v5, v5, v14, v13
	v_sub_nc_u32_e32 v13, v11, v5
	v_subrev_co_ci_u32_e64 v13, s0, s25, v13, vcc_lo
	v_add_co_u32 v14, s0, v12, 2
	v_add_co_ci_u32_e64 v15, s0, 0, v6, s0
	v_sub_co_u32 v16, s0, v4, s24
	v_sub_co_ci_u32_e32 v5, vcc_lo, v11, v5, vcc_lo
	v_subrev_co_ci_u32_e64 v13, s0, 0, v13, s0
	v_cmp_le_u32_e32 vcc_lo, s24, v16
	v_cmp_eq_u32_e64 s0, s25, v5
	v_cndmask_b32_e64 v16, 0, -1, vcc_lo
	v_cmp_le_u32_e32 vcc_lo, s25, v13
	v_cndmask_b32_e64 v17, 0, -1, vcc_lo
	v_cmp_le_u32_e32 vcc_lo, s24, v4
	;; [unrolled: 2-line block ×3, first 2 shown]
	v_cndmask_b32_e64 v18, 0, -1, vcc_lo
	v_cmp_eq_u32_e32 vcc_lo, s25, v13
	v_cndmask_b32_e64 v4, v18, v4, s0
	v_cndmask_b32_e32 v13, v17, v16, vcc_lo
	v_add_co_u32 v16, vcc_lo, v12, 1
	v_add_co_ci_u32_e32 v17, vcc_lo, 0, v6, vcc_lo
	v_cmp_ne_u32_e32 vcc_lo, 0, v13
	v_cndmask_b32_e32 v5, v17, v15, vcc_lo
	v_cndmask_b32_e32 v13, v16, v14, vcc_lo
	v_cmp_ne_u32_e32 vcc_lo, 0, v4
	v_cndmask_b32_e32 v6, v6, v5, vcc_lo
	v_cndmask_b32_e32 v5, v12, v13, vcc_lo
.LBB0_4:                                ;   in Loop: Header=BB0_2 Depth=1
	s_andn2_saveexec_b32 s0, s1
	s_cbranch_execz .LBB0_6
; %bb.5:                                ;   in Loop: Header=BB0_2 Depth=1
	v_cvt_f32_u32_e32 v4, s24
	s_sub_i32 s1, 0, s24
	v_rcp_iflag_f32_e32 v4, v4
	v_mul_f32_e32 v4, 0x4f7ffffe, v4
	v_cvt_u32_f32_e32 v4, v4
	v_mul_lo_u32 v5, s1, v4
	v_mul_hi_u32 v5, v4, v5
	v_add_nc_u32_e32 v4, v4, v5
	v_mul_hi_u32 v4, v10, v4
	v_mul_lo_u32 v5, v4, s24
	v_add_nc_u32_e32 v6, 1, v4
	v_sub_nc_u32_e32 v5, v10, v5
	v_subrev_nc_u32_e32 v12, s24, v5
	v_cmp_le_u32_e32 vcc_lo, s24, v5
	v_cndmask_b32_e32 v5, v5, v12, vcc_lo
	v_cndmask_b32_e32 v4, v4, v6, vcc_lo
	v_cmp_le_u32_e32 vcc_lo, s24, v5
	v_add_nc_u32_e32 v6, 1, v4
	v_cndmask_b32_e32 v5, v4, v6, vcc_lo
	v_mov_b32_e32 v6, v3
.LBB0_6:                                ;   in Loop: Header=BB0_2 Depth=1
	s_or_b32 exec_lo, exec_lo, s0
	v_mul_lo_u32 v4, v6, s24
	v_mul_lo_u32 v14, v5, s25
	s_load_dwordx2 s[0:1], s[6:7], 0x0
	v_mad_u64_u32 v[12:13], null, v5, s24, 0
	s_load_dwordx2 s[24:25], s[2:3], 0x0
	s_add_u32 s22, s22, 1
	s_addc_u32 s23, s23, 0
	s_add_u32 s2, s2, 8
	s_addc_u32 s3, s3, 0
	s_add_u32 s6, s6, 8
	v_add3_u32 v4, v13, v14, v4
	v_sub_co_u32 v10, vcc_lo, v10, v12
	s_addc_u32 s7, s7, 0
	s_add_u32 s20, s20, 8
	v_sub_co_ci_u32_e32 v4, vcc_lo, v11, v4, vcc_lo
	s_addc_u32 s21, s21, 0
	s_waitcnt lgkmcnt(0)
	v_mul_lo_u32 v11, s0, v4
	v_mul_lo_u32 v12, s1, v10
	v_mad_u64_u32 v[8:9], null, s0, v10, v[8:9]
	v_mul_lo_u32 v4, s24, v4
	v_mul_lo_u32 v13, s25, v10
	v_mad_u64_u32 v[1:2], null, s24, v10, v[1:2]
	v_cmp_ge_u64_e64 s0, s[22:23], s[14:15]
	v_add3_u32 v9, v12, v9, v11
	v_add3_u32 v2, v13, v2, v4
	s_and_b32 vcc_lo, exec_lo, s0
	s_cbranch_vccnz .LBB0_9
; %bb.7:                                ;   in Loop: Header=BB0_2 Depth=1
	v_mov_b32_e32 v11, v6
	v_mov_b32_e32 v10, v5
	s_branch .LBB0_2
.LBB0_8:
	v_mov_b32_e32 v1, v8
	v_mov_b32_e32 v5, v10
	;; [unrolled: 1-line block ×4, first 2 shown]
.LBB0_9:
	s_load_dwordx2 s[0:1], s[4:5], 0x28
	s_lshl_b64 s[4:5], s[14:15], 3
	v_and_b32_e32 v3, 15, v0
	s_add_u32 s2, s18, s4
	s_addc_u32 s3, s19, s5
                                        ; implicit-def: $vgpr10_vgpr11
	s_waitcnt lgkmcnt(0)
	v_cmp_gt_u64_e32 vcc_lo, s[0:1], v[5:6]
	v_cmp_le_u64_e64 s0, s[0:1], v[5:6]
	s_and_saveexec_b32 s1, s0
	s_xor_b32 s0, exec_lo, s1
; %bb.10:
	v_mov_b32_e32 v4, 0
	v_and_b32_e32 v3, 15, v0
                                        ; implicit-def: $vgpr8_vgpr9
	v_mov_b32_e32 v11, v4
	v_mov_b32_e32 v10, v3
; %bb.11:
	s_or_saveexec_b32 s1, s0
	s_load_dwordx2 s[2:3], s[2:3], 0x0
	v_mul_u32_u24_e32 v0, 0xe1, v7
                                        ; implicit-def: $vgpr7
	v_lshlrev_b32_e32 v13, 2, v0
	s_xor_b32 exec_lo, exec_lo, s1
	s_cbranch_execz .LBB0_15
; %bb.12:
	s_add_u32 s4, s16, s4
	s_addc_u32 s5, s17, s5
	s_load_dwordx2 s[4:5], s[4:5], 0x0
	s_waitcnt lgkmcnt(0)
	v_mul_lo_u32 v4, s5, v5
	v_mul_lo_u32 v7, s4, v6
	v_mad_u64_u32 v[10:11], null, s4, v5, 0
	s_mov_b32 s4, exec_lo
	v_add3_u32 v11, v11, v7, v4
	v_lshlrev_b64 v[7:8], 2, v[8:9]
	v_lshlrev_b64 v[10:11], 2, v[10:11]
	v_add_co_u32 v4, s0, s8, v10
	v_add_co_ci_u32_e64 v9, s0, s9, v11, s0
	v_lshlrev_b32_e32 v11, 2, v3
	v_add_co_u32 v7, s0, v4, v7
	v_add_co_ci_u32_e64 v8, s0, v9, v8, s0
	v_mov_b32_e32 v4, 0
	v_add_co_u32 v9, s0, v7, v11
	v_add_co_ci_u32_e64 v10, s0, 0, v8, s0
	s_clause 0xd
	global_load_dword v12, v[9:10], off
	global_load_dword v14, v[9:10], off offset:64
	global_load_dword v15, v[9:10], off offset:128
	;; [unrolled: 1-line block ×13, first 2 shown]
	v_add3_u32 v9, 0, v13, v11
	v_mov_b32_e32 v11, v4
	v_mov_b32_e32 v10, v3
	s_waitcnt vmcnt(12)
	ds_write2_b32 v9, v12, v14 offset1:16
	s_waitcnt vmcnt(10)
	ds_write2_b32 v9, v15, v16 offset0:32 offset1:48
	s_waitcnt vmcnt(8)
	ds_write2_b32 v9, v17, v18 offset0:64 offset1:80
	;; [unrolled: 2-line block ×6, first 2 shown]
	v_cmpx_eq_u32_e32 15, v3
	s_cbranch_execz .LBB0_14
; %bb.13:
	global_load_dword v4, v[7:8], off offset:896
	v_mov_b32_e32 v10, 15
	v_mov_b32_e32 v11, 0
	;; [unrolled: 1-line block ×3, first 2 shown]
	s_waitcnt vmcnt(0)
	ds_write_b32 v9, v4 offset:836
.LBB0_14:
	s_or_b32 exec_lo, exec_lo, s4
	v_mov_b32_e32 v7, v3
.LBB0_15:
	s_or_b32 exec_lo, exec_lo, s1
	v_lshl_add_u32 v0, v0, 2, 0
	v_lshlrev_b32_e32 v14, 2, v3
	s_waitcnt lgkmcnt(0)
	s_barrier
	buffer_gl0_inv
	v_lshlrev_b64 v[8:9], 2, v[10:11]
	v_add_nc_u32_e32 v12, v0, v14
	v_sub_nc_u32_e32 v25, v0, v14
	s_mov_b32 s1, exec_lo
	ds_read_u16 v4, v12
	ds_read_u16 v17, v25 offset:896
	s_waitcnt lgkmcnt(0)
	v_add_f16_e32 v15, v17, v4
	v_sub_f16_e32 v16, v4, v17
	v_cmpx_ne_u32_e32 0, v3
	s_xor_b32 s1, exec_lo, s1
	s_cbranch_execz .LBB0_17
; %bb.16:
	v_add_co_u32 v10, s0, s12, v8
	v_add_co_ci_u32_e64 v11, s0, s13, v9, s0
	v_add_f16_e32 v16, v17, v4
	v_sub_f16_e32 v4, v4, v17
	global_load_dword v10, v[10:11], off offset:868
	ds_read_u16 v11, v25 offset:898
	ds_read_u16 v15, v12 offset:2
	s_waitcnt lgkmcnt(0)
	v_add_f16_e32 v17, v11, v15
	v_sub_f16_e32 v11, v15, v11
	s_waitcnt vmcnt(0)
	v_lshrrev_b32_e32 v18, 16, v10
	v_fma_f16 v19, -v4, v18, v16
	v_fma_f16 v20, v17, v18, -v11
	v_fma_f16 v15, v4, v18, v16
	v_fma_f16 v16, v17, v18, v11
	v_fmac_f16_e32 v19, v10, v17
	v_fmac_f16_e32 v20, v4, v10
	v_fma_f16 v15, -v10, v17, v15
	v_fmac_f16_e32 v16, v4, v10
	v_pack_b32_f16 v11, v19, v20
	ds_write_b32 v25, v11 offset:896
.LBB0_17:
	s_andn2_saveexec_b32 s0, s1
	s_cbranch_execz .LBB0_19
; %bb.18:
	ds_read_b32 v4, v0 offset:448
	s_waitcnt lgkmcnt(0)
	v_pk_mul_f16 v4, 0xc0004000, v4
	ds_write_b32 v0, v4 offset:448
.LBB0_19:
	s_or_b32 exec_lo, exec_lo, s0
	v_mov_b32_e32 v4, 0
	s_add_u32 s0, s12, 0x364
	s_addc_u32 s1, s13, 0
	v_perm_b32 v15, v16, v15, 0x5040100
	v_add3_u32 v14, 0, v14, v13
	v_lshlrev_b64 v[10:11], 2, v[3:4]
	v_mad_u32_u24 v27, v3, 24, v14
	v_add_co_u32 v17, s0, s0, v10
	v_add_co_ci_u32_e64 v18, s0, s1, v11, s0
	v_cmp_gt_u32_e64 s0, 14, v3
	s_clause 0x5
	global_load_dword v19, v[17:18], off offset:64
	global_load_dword v20, v[17:18], off offset:128
	;; [unrolled: 1-line block ×6, first 2 shown]
	ds_write_b32 v12, v15
	ds_read_b32 v15, v12 offset:64
	ds_read_b32 v16, v25 offset:832
	s_waitcnt lgkmcnt(0)
	v_add_f16_e32 v17, v15, v16
	v_add_f16_sdwa v18, v16, v15 dst_sel:DWORD dst_unused:UNUSED_PAD src0_sel:WORD_1 src1_sel:WORD_1
	v_sub_f16_e32 v23, v15, v16
	v_sub_f16_sdwa v15, v15, v16 dst_sel:DWORD dst_unused:UNUSED_PAD src0_sel:WORD_1 src1_sel:WORD_1
	s_waitcnt vmcnt(5)
	v_lshrrev_b32_e32 v24, 16, v19
	s_waitcnt vmcnt(1)
	v_lshrrev_b32_e32 v45, 16, v31
	v_fma_f16 v16, v23, v24, v17
	v_fma_f16 v26, v18, v24, v15
	v_fma_f16 v17, -v23, v24, v17
	v_fma_f16 v15, v18, v24, -v15
	v_fma_f16 v16, -v19, v18, v16
	v_fmac_f16_e32 v26, v23, v19
	v_fmac_f16_e32 v17, v19, v18
	;; [unrolled: 1-line block ×3, first 2 shown]
	v_pack_b32_f16 v16, v16, v26
	v_or_b32_e32 v26, 32, v3
	v_pack_b32_f16 v15, v17, v15
	v_lshrrev_b32_e32 v17, 16, v20
	ds_write_b32 v12, v16 offset:64
	ds_write_b32 v25, v15 offset:832
	ds_read_b32 v15, v12 offset:128
	ds_read_b32 v16, v25 offset:768
	s_waitcnt lgkmcnt(0)
	v_add_f16_e32 v18, v15, v16
	v_add_f16_sdwa v19, v16, v15 dst_sel:DWORD dst_unused:UNUSED_PAD src0_sel:WORD_1 src1_sel:WORD_1
	v_sub_f16_e32 v23, v15, v16
	v_sub_f16_sdwa v15, v15, v16 dst_sel:DWORD dst_unused:UNUSED_PAD src0_sel:WORD_1 src1_sel:WORD_1
	v_fma_f16 v16, v23, v17, v18
	v_fma_f16 v24, v19, v17, v15
	v_fma_f16 v18, -v23, v17, v18
	v_fma_f16 v15, v19, v17, -v15
	v_lshrrev_b32_e32 v17, 16, v21
	v_fma_f16 v16, -v20, v19, v16
	v_fmac_f16_e32 v24, v23, v20
	v_fmac_f16_e32 v18, v20, v19
	;; [unrolled: 1-line block ×3, first 2 shown]
	v_pack_b32_f16 v16, v16, v24
	v_pack_b32_f16 v15, v18, v15
	ds_write_b32 v12, v16 offset:128
	ds_write_b32 v25, v15 offset:768
	ds_read_b32 v15, v12 offset:192
	ds_read_b32 v16, v25 offset:704
	s_waitcnt lgkmcnt(0)
	v_add_f16_e32 v18, v15, v16
	v_add_f16_sdwa v19, v16, v15 dst_sel:DWORD dst_unused:UNUSED_PAD src0_sel:WORD_1 src1_sel:WORD_1
	v_sub_f16_e32 v20, v15, v16
	v_sub_f16_sdwa v15, v15, v16 dst_sel:DWORD dst_unused:UNUSED_PAD src0_sel:WORD_1 src1_sel:WORD_1
	v_fma_f16 v16, v20, v17, v18
	v_fma_f16 v23, v19, v17, v15
	v_fma_f16 v18, -v20, v17, v18
	v_fma_f16 v15, v19, v17, -v15
	v_mov_b32_e32 v17, 2
	v_fma_f16 v16, -v21, v19, v16
	v_fmac_f16_e32 v23, v20, v21
	v_fmac_f16_e32 v18, v21, v19
	;; [unrolled: 1-line block ×3, first 2 shown]
	v_and_b32_e32 v21, 0xff, v3
	v_pack_b32_f16 v16, v16, v23
	v_lshrrev_b32_e32 v23, 16, v22
	v_pack_b32_f16 v15, v18, v15
	ds_write_b32 v12, v16 offset:192
	ds_write_b32 v25, v15 offset:704
	ds_read_b32 v19, v12 offset:256
	ds_read_b32 v20, v25 offset:640
	v_mul_lo_u16 v35, v21, 37
	v_or_b32_e32 v15, 48, v3
	v_or_b32_e32 v16, 16, v3
	;; [unrolled: 1-line block ×3, first 2 shown]
	s_waitcnt lgkmcnt(0)
	v_add_f16_e32 v24, v19, v20
	v_add_f16_sdwa v28, v20, v19 dst_sel:DWORD dst_unused:UNUSED_PAD src0_sel:WORD_1 src1_sel:WORD_1
	v_sub_f16_e32 v29, v19, v20
	v_sub_f16_sdwa v32, v19, v20 dst_sel:DWORD dst_unused:UNUSED_PAD src0_sel:WORD_1 src1_sel:WORD_1
	v_or_b32_e32 v19, 0x50, v3
	v_or_b32_e32 v20, 0x60, v3
	v_fma_f16 v33, v29, v23, v24
	v_fma_f16 v34, v28, v23, v32
	v_fma_f16 v24, -v29, v23, v24
	v_fma_f16 v32, v28, v23, -v32
	v_and_b32_e32 v23, 0xff, v15
	v_fma_f16 v21, -v22, v28, v33
	v_fmac_f16_e32 v34, v29, v22
	v_fmac_f16_e32 v24, v22, v28
	;; [unrolled: 1-line block ×3, first 2 shown]
	v_and_b32_e32 v29, 0xff, v26
	v_mul_lo_u16 v37, v23, 37
	v_pack_b32_f16 v33, v21, v34
	v_and_b32_e32 v28, 0xff, v16
	v_pack_b32_f16 v32, v24, v32
	ds_write_b32 v12, v33 offset:256
	ds_write_b32 v25, v32 offset:640
	ds_read_b32 v32, v12 offset:320
	ds_read_b32 v33, v25 offset:576
	v_mul_lo_u16 v36, v29, 37
	v_lshrrev_b16 v37, 8, v37
	v_and_b32_e32 v22, 0xff, v18
	v_and_b32_e32 v24, 0xff, v19
	;; [unrolled: 1-line block ×3, first 2 shown]
	v_lshrrev_b16 v36, 8, v36
	v_sub_nc_u16 v44, v15, v37
	v_lshrrev_b16 v34, 8, v35
	v_mul_lo_u16 v35, v28, 37
	v_mul_lo_u16 v38, v22, 37
	v_sub_nc_u16 v43, v26, v36
	v_mul_lo_u16 v39, v24, 37
	v_mul_lo_u16 v40, v21, 37
	v_sub_nc_u16 v41, v3, v34
	v_lshrrev_b16 v35, 8, v35
	v_lshrrev_b16 v38, 8, v38
	;; [unrolled: 1-line block ×5, first 2 shown]
	s_waitcnt lgkmcnt(0)
	v_add_f16_e32 v46, v32, v33
	v_add_f16_sdwa v47, v33, v32 dst_sel:DWORD dst_unused:UNUSED_PAD src0_sel:WORD_1 src1_sel:WORD_1
	v_sub_f16_e32 v48, v32, v33
	v_sub_f16_sdwa v32, v32, v33 dst_sel:DWORD dst_unused:UNUSED_PAD src0_sel:WORD_1 src1_sel:WORD_1
	v_sub_nc_u16 v42, v16, v35
	v_sub_nc_u16 v33, v18, v38
	v_sub_nc_u16 v49, v19, v39
	v_fma_f16 v51, v48, v45, v46
	v_fma_f16 v52, v47, v45, v32
	v_fma_f16 v46, -v48, v45, v46
	v_fma_f16 v32, v47, v45, -v32
	v_sub_nc_u16 v50, v20, v40
	v_fma_f16 v45, -v31, v47, v51
	v_fmac_f16_e32 v52, v48, v31
	v_fmac_f16_e32 v46, v31, v47
	;; [unrolled: 1-line block ×3, first 2 shown]
	v_lshrrev_b16 v31, 1, v43
	v_lshrrev_b16 v43, 1, v44
	v_pack_b32_f16 v44, v45, v52
	v_and_b32_e32 v41, 0x7f, v41
	v_pack_b32_f16 v32, v46, v32
	ds_write_b32 v12, v44 offset:320
	ds_write_b32 v25, v32 offset:576
	ds_read_b32 v44, v12 offset:384
	ds_read_b32 v47, v25 offset:512
	v_lshrrev_b16 v33, 1, v33
	v_lshrrev_b16 v45, 1, v49
	;; [unrolled: 1-line block ×4, first 2 shown]
	v_and_b32_e32 v32, 0x7f, v43
	v_and_b32_e32 v33, 0x7f, v33
	;; [unrolled: 1-line block ×3, first 2 shown]
	v_add_nc_u16 v34, v41, v34
	v_and_b32_e32 v41, 0x7f, v42
	v_and_b32_e32 v42, 0x7f, v46
	;; [unrolled: 1-line block ×3, first 2 shown]
	v_add_nc_u16 v32, v32, v37
	v_add_nc_u16 v33, v33, v38
	v_add_nc_u16 v37, v43, v39
	v_add_nc_u16 v35, v41, v35
	v_add_nc_u16 v38, v42, v40
	s_waitcnt vmcnt(0)
	v_lshrrev_b32_e32 v39, 16, v30
	v_add_nc_u16 v36, v31, v36
	v_lshrrev_b16 v31, 2, v34
	s_waitcnt lgkmcnt(0)
	v_add_f16_e32 v40, v44, v47
	v_add_f16_sdwa v41, v47, v44 dst_sel:DWORD dst_unused:UNUSED_PAD src0_sel:WORD_1 src1_sel:WORD_1
	v_sub_f16_e32 v42, v44, v47
	v_sub_f16_sdwa v43, v44, v47 dst_sel:DWORD dst_unused:UNUSED_PAD src0_sel:WORD_1 src1_sel:WORD_1
	v_lshrrev_b16 v34, 2, v32
	v_lshrrev_b16 v32, 2, v37
	;; [unrolled: 1-line block ×4, first 2 shown]
	v_fma_f16 v38, v42, v39, v40
	v_fma_f16 v45, v41, v39, v43
	v_fma_f16 v40, -v42, v39, v40
	v_fma_f16 v39, v41, v39, -v43
	v_lshrrev_b16 v36, 2, v36
	v_fma_f16 v38, -v30, v41, v38
	v_fmac_f16_e32 v45, v42, v30
	v_fmac_f16_e32 v40, v30, v41
	;; [unrolled: 1-line block ×3, first 2 shown]
	v_mul_lo_u16 v44, v31, 7
	v_mul_lo_u16 v52, v34, 7
	v_pack_b32_f16 v38, v38, v45
	v_mul_lo_u16 v54, v36, 7
	v_pack_b32_f16 v39, v40, v39
	v_lshrrev_b16 v33, 2, v33
	v_sub_nc_u16 v55, v3, v44
	ds_write_b32 v12, v38 offset:384
	ds_write_b32 v25, v39 offset:512
	s_waitcnt lgkmcnt(0)
	s_barrier
	buffer_gl0_inv
	s_barrier
	buffer_gl0_inv
	ds_read2_b32 v[40:41], v14 offset0:16 offset1:32
	ds_read2_b32 v[42:43], v14 offset0:48 offset1:64
	ds_read2_b32 v[44:45], v14 offset0:80 offset1:96
	ds_read2_b32 v[46:47], v14 offset0:176 offset1:192
	ds_read2_b32 v[48:49], v14 offset0:144 offset1:160
	ds_read2_b32 v[50:51], v14 offset0:112 offset1:128
	v_sub_nc_u16 v39, v15, v52
	v_sub_nc_u16 v52, v26, v54
	ds_read_b32 v54, v14 offset:832
	v_mul_lo_u16 v30, v33, 7
	v_mul_lo_u16 v53, v32, 7
	;; [unrolled: 1-line block ×4, first 2 shown]
	v_lshlrev_b32_sdwa v55, v17, v55 dst_sel:DWORD dst_unused:UNUSED_PAD src0_sel:DWORD src1_sel:BYTE_0
	v_sub_nc_u16 v25, v18, v30
	v_sub_nc_u16 v30, v19, v53
	v_sub_nc_u16 v53, v16, v56
	v_sub_nc_u16 v56, v20, v57
	v_lshlrev_b32_sdwa v57, v17, v39 dst_sel:DWORD dst_unused:UNUSED_PAD src0_sel:DWORD src1_sel:BYTE_0
	v_lshlrev_b32_sdwa v38, v17, v25 dst_sel:DWORD dst_unused:UNUSED_PAD src0_sel:DWORD src1_sel:BYTE_0
	ds_read_b32 v25, v12
	v_lshlrev_b32_sdwa v30, v17, v30 dst_sel:DWORD dst_unused:UNUSED_PAD src0_sel:DWORD src1_sel:BYTE_0
	v_lshlrev_b32_sdwa v39, v17, v56 dst_sel:DWORD dst_unused:UNUSED_PAD src0_sel:DWORD src1_sel:BYTE_0
	s_waitcnt lgkmcnt(4)
	v_pk_add_f16 v56, v41, v47
	s_waitcnt lgkmcnt(3)
	v_pk_add_f16 v58, v43, v49
	;; [unrolled: 2-line block ×3, first 2 shown]
	v_pk_add_f16 v41, v41, v47 neg_lo:[0,1] neg_hi:[0,1]
	v_pk_add_f16 v43, v43, v49 neg_lo:[0,1] neg_hi:[0,1]
	v_pk_add_f16 v47, v44, v46
	v_pk_add_f16 v44, v44, v46 neg_lo:[0,1] neg_hi:[0,1]
	v_pk_add_f16 v45, v51, v45 neg_lo:[0,1] neg_hi:[0,1]
	s_waitcnt lgkmcnt(1)
	v_pk_add_f16 v46, v42, v54
	v_pk_add_f16 v49, v50, v48
	v_pk_add_f16 v42, v42, v54 neg_lo:[0,1] neg_hi:[0,1]
	v_pk_add_f16 v48, v48, v50 neg_lo:[0,1] neg_hi:[0,1]
	v_pk_add_f16 v50, v58, v56
	v_pk_add_f16 v51, v58, v56 neg_lo:[0,1] neg_hi:[0,1]
	v_pk_add_f16 v54, v56, v59 neg_lo:[0,1] neg_hi:[0,1]
	;; [unrolled: 3-line block ×3, first 2 shown]
	v_pk_add_f16 v43, v45, v43 neg_lo:[0,1] neg_hi:[0,1]
	v_pk_add_f16 v45, v47, v46
	v_pk_add_f16 v62, v47, v46 neg_lo:[0,1] neg_hi:[0,1]
	v_pk_add_f16 v46, v46, v49 neg_lo:[0,1] neg_hi:[0,1]
	v_pk_add_f16 v63, v48, v44
	v_pk_add_f16 v64, v42, v48 neg_lo:[0,1] neg_hi:[0,1]
	v_pk_add_f16 v48, v48, v44 neg_lo:[0,1] neg_hi:[0,1]
	;; [unrolled: 1-line block ×3, first 2 shown]
	v_pk_add_f16 v50, v59, v50
	v_pk_add_f16 v58, v59, v58 neg_lo:[0,1] neg_hi:[0,1]
	v_pk_add_f16 v47, v49, v47 neg_lo:[0,1] neg_hi:[0,1]
	v_pk_add_f16 v41, v56, v41
	v_pk_add_f16 v45, v49, v45
	v_pk_mul_f16 v49, 0x3a52, v54 op_sel_hi:[0,1]
	v_pk_mul_f16 v51, 0x39e0, v51 op_sel_hi:[0,1]
	;; [unrolled: 1-line block ×8, first 2 shown]
	s_waitcnt lgkmcnt(0)
	v_pk_add_f16 v25, v25, v50
	v_pk_add_f16 v62, v49, v51 op_sel:[1,1] op_sel_hi:[0,0] neg_lo:[1,1] neg_hi:[1,1]
	v_pk_fma_f16 v51, 0x2b26, v58, v51 op_sel_hi:[0,1,1] neg_lo:[0,1,0] neg_hi:[0,1,0]
	v_pk_fma_f16 v49, 0x2b26, v58, v49 op_sel_hi:[0,1,1]
	v_pk_fma_f16 v58, 0x3574, v60, v54 op_sel_hi:[0,1,1] neg_lo:[0,1,1] neg_hi:[0,1,1]
	v_pk_fma_f16 v54, 0xb846, v43, v54 op_sel_hi:[0,1,1] neg_lo:[0,1,0] neg_hi:[0,1,0]
	v_pk_fma_f16 v43, 0xb846, v43, v56 op_sel_hi:[0,1,1]
	v_pk_add_f16 v40, v40, v45
	v_pk_add_f16 v42, v63, v42
	v_pk_add_f16 v56, v46, v59 op_sel:[1,1] op_sel_hi:[0,0] neg_lo:[1,1] neg_hi:[1,1]
	v_pk_fma_f16 v59, 0x2b26, v47, v59 op_sel_hi:[0,1,1] neg_lo:[0,1,0] neg_hi:[0,1,0]
	v_pk_fma_f16 v46, 0x2b26, v47, v46 op_sel_hi:[0,1,1]
	v_pk_fma_f16 v47, 0x3574, v64, v44 op_sel_hi:[0,1,1] neg_lo:[0,1,1] neg_hi:[0,1,1]
	v_pk_fma_f16 v44, 0xb846, v48, v44 op_sel_hi:[0,1,1] neg_lo:[0,1,0] neg_hi:[0,1,0]
	v_pk_fma_f16 v48, 0xb846, v48, v61 op_sel_hi:[0,1,1]
	v_pk_fma_f16 v50, 0x3cab, v50, v25 op_sel_hi:[0,1,1] neg_lo:[0,1,0] neg_hi:[0,1,0]
	v_pk_fma_f16 v58, 0x370e, v41, v58 op_sel_hi:[0,1,1]
	v_pk_fma_f16 v54, 0x370e, v41, v54 op_sel_hi:[0,1,1]
	;; [unrolled: 1-line block ×3, first 2 shown]
	v_pk_fma_f16 v43, 0x3cab, v45, v40 op_sel_hi:[0,1,1] neg_lo:[0,1,0] neg_hi:[0,1,0]
	v_pk_fma_f16 v45, 0x370e, v42, v47 op_sel_hi:[0,1,1]
	v_pk_fma_f16 v44, 0x370e, v42, v44 op_sel_hi:[0,1,1]
	;; [unrolled: 1-line block ×3, first 2 shown]
	v_pk_add_f16 v47, v62, v50 op_sel:[0,1] op_sel_hi:[1,0]
	v_pk_add_f16 v48, v51, v50
	v_pk_add_f16 v49, v49, v50
	v_pk_add_f16 v50, v56, v43 op_sel:[0,1] op_sel_hi:[1,0]
	v_pk_add_f16 v51, v59, v43
	v_pk_add_f16 v43, v46, v43
	;; [unrolled: 1-line block ×3, first 2 shown]
	v_pk_add_f16 v47, v47, v58 neg_lo:[0,1] neg_hi:[0,1]
	v_pk_add_f16 v56, v48, v54 op_sel:[0,1] op_sel_hi:[1,0] neg_lo:[0,1] neg_hi:[0,1]
	v_pk_add_f16 v48, v48, v54 op_sel:[0,1] op_sel_hi:[1,0]
	v_pk_add_f16 v54, v49, v41 op_sel:[0,1] op_sel_hi:[1,0]
	v_pk_add_f16 v41, v49, v41 op_sel:[0,1] op_sel_hi:[1,0] neg_lo:[0,1] neg_hi:[0,1]
	v_pk_add_f16 v49, v50, v45
	v_pk_add_f16 v45, v50, v45 neg_lo:[0,1] neg_hi:[0,1]
	v_pk_add_f16 v50, v51, v44 op_sel:[0,1] op_sel_hi:[1,0] neg_lo:[0,1] neg_hi:[0,1]
	v_pk_add_f16 v44, v51, v44 op_sel:[0,1] op_sel_hi:[1,0]
	v_pk_add_f16 v51, v43, v42 op_sel:[0,1] op_sel_hi:[1,0]
	v_pk_add_f16 v42, v43, v42 op_sel:[0,1] op_sel_hi:[1,0] neg_lo:[0,1] neg_hi:[0,1]
	v_alignbit_b32 v43, v47, v46, 16
	v_bfi_b32 v58, 0xffff, v56, v48
	v_lshlrev_b32_sdwa v53, v17, v53 dst_sel:DWORD dst_unused:UNUSED_PAD src0_sel:DWORD src1_sel:BYTE_0
	v_bfi_b32 v48, 0xffff, v48, v56
	v_alignbit_b32 v46, v46, v47, 16
	v_bfi_b32 v47, 0xffff, v41, v54
	v_bfi_b32 v41, 0xffff, v54, v41
	v_alignbit_b32 v54, v45, v49, 16
	v_bfi_b32 v56, 0xffff, v50, v44
	;; [unrolled: 3-line block ×3, first 2 shown]
	v_lshlrev_b32_sdwa v52, v17, v52 dst_sel:DWORD dst_unused:UNUSED_PAD src0_sel:DWORD src1_sel:BYTE_0
	s_barrier
	buffer_gl0_inv
	v_bfi_b32 v42, 0xffff, v51, v42
	ds_write2_b32 v27, v43, v58 offset0:2 offset1:3
	ds_write2_b32 v27, v48, v46 offset0:4 offset1:5
	ds_write2_b32 v27, v25, v41 offset1:1
	ds_write2_b32 v27, v54, v56 offset0:114 offset1:115
	ds_write2_b32 v27, v44, v45 offset0:116 offset1:117
	ds_write2_b32 v27, v40, v42 offset0:112 offset1:113
	ds_write2_b32 v27, v47, v49 offset0:6 offset1:118
	s_waitcnt lgkmcnt(0)
	s_barrier
	buffer_gl0_inv
	s_clause 0x6
	global_load_dword v48, v30, s[12:13]
	global_load_dword v49, v53, s[12:13]
	;; [unrolled: 1-line block ×7, first 2 shown]
	ds_read2_b32 v[40:41], v14 offset0:176 offset1:192
	ds_read2_b32 v[42:43], v14 offset0:144 offset1:160
	ds_read2_b32 v[44:45], v14 offset0:112 offset1:128
	ds_read_b32 v61, v12
	ds_read_b32 v62, v14 offset:832
	v_add_nc_u32_e32 v25, -14, v3
	v_lshrrev_b16 v29, 1, v29
	v_mov_b32_e32 v47, v4
	v_lshrrev_b16 v59, 1, v28
	v_lshrrev_b16 v60, 1, v23
	v_cndmask_b32_e64 v46, v25, v3, s0
	v_mad_i32_i24 v25, 0xffffffe8, v3, v27
	v_mul_lo_u16 v29, 0x93, v29
	v_and_b32_e32 v31, 0xffff, v31
	v_mul_lo_u16 v60, 0x93, v60
	v_and_b32_e32 v34, 0xffff, v34
	v_and_b32_e32 v32, 0xffff, v32
	;; [unrolled: 1-line block ×3, first 2 shown]
	v_mad_u32_u24 v31, v31, 56, 0
	v_lshrrev_b16 v60, 10, v60
	v_mad_u32_u24 v34, v34, 56, 0
	v_and_b32_e32 v35, 0xffff, v35
	v_mad_u32_u24 v32, v32, 56, 0
	v_add3_u32 v55, v31, v55, v13
	v_mul_lo_u16 v31, v60, 14
	v_mad_u32_u24 v33, v33, 56, 0
	v_add3_u32 v57, v34, v57, v13
	v_mad_u32_u24 v34, v35, 56, 0
	v_add3_u32 v68, v32, v30, v13
	v_and_b32_e32 v36, 0xffff, v36
	v_add3_u32 v35, v33, v38, v13
	v_mul_lo_u16 v59, 0x93, v59
	v_add3_u32 v39, v34, v39, v13
	ds_read2_b32 v[33:34], v25 offset0:48 offset1:64
	v_mad_u32_u24 v36, v36, 56, 0
	v_lshrrev_b16 v23, 2, v23
	v_lshrrev_b16 v59, 10, v59
	v_add3_u32 v36, v36, v52, v13
	v_mul_lo_u16 v23, v23, 37
	v_mul_lo_u16 v38, v59, 14
	v_sub_nc_u16 v38, v16, v38
	v_lshlrev_b32_sdwa v38, v17, v38 dst_sel:DWORD dst_unused:UNUSED_PAD src0_sel:DWORD src1_sel:BYTE_0
	s_waitcnt vmcnt(6) lgkmcnt(5)
	v_pk_mul_f16 v27, v41, v48 op_sel:[0,1]
	s_waitcnt vmcnt(5) lgkmcnt(3)
	v_pk_mul_f16 v66, v49, v45 op_sel:[0,1]
	s_waitcnt vmcnt(3)
	v_pk_mul_f16 v28, v40, v51 op_sel:[0,1]
	s_waitcnt vmcnt(2)
	v_pk_mul_f16 v63, v54, v43 op_sel:[0,1]
	s_waitcnt vmcnt(1)
	v_pk_mul_f16 v64, v56, v42 op_sel:[0,1]
	v_pk_fma_f16 v65, v41, v48, v27 op_sel:[0,0,1] op_sel_hi:[1,1,0] neg_lo:[0,0,1] neg_hi:[0,0,1]
	v_pk_fma_f16 v41, v41, v48, v27 op_sel:[0,0,1] op_sel_hi:[1,0,0]
	v_pk_fma_f16 v48, v40, v51, v28 op_sel:[0,0,1] op_sel_hi:[1,1,0] neg_lo:[0,0,1] neg_hi:[0,0,1]
	v_pk_fma_f16 v40, v40, v51, v28 op_sel:[0,0,1] op_sel_hi:[1,0,0]
	s_waitcnt vmcnt(0)
	v_pk_mul_f16 v51, v58, v44 op_sel:[0,1]
	v_lshlrev_b64 v[27:28], 2, v[46:47]
	v_lshrrev_b16 v47, 10, v29
	s_waitcnt lgkmcnt(1)
	v_pk_mul_f16 v29, v62, v50 op_sel:[0,1]
	v_pk_fma_f16 v67, v54, v43, v63 op_sel:[0,0,1] op_sel_hi:[1,1,0] neg_lo:[0,0,1] neg_hi:[0,0,1]
	v_pk_fma_f16 v43, v54, v43, v63 op_sel:[0,0,1] op_sel_hi:[1,0,0]
	v_pk_fma_f16 v54, v56, v42, v64 op_sel:[0,0,1] op_sel_hi:[1,1,0] neg_lo:[0,0,1] neg_hi:[0,0,1]
	v_pk_fma_f16 v42, v56, v42, v64 op_sel:[0,0,1] op_sel_hi:[1,0,0]
	;; [unrolled: 2-line block ×4, first 2 shown]
	v_lshrrev_b16 v29, 1, v22
	v_lshrrev_b16 v62, 1, v24
	v_pk_fma_f16 v51, v49, v45, v66 op_sel:[0,0,1] op_sel_hi:[1,1,0] neg_lo:[0,0,1] neg_hi:[0,0,1]
	v_pk_fma_f16 v45, v49, v45, v66 op_sel:[0,0,1] op_sel_hi:[1,0,0]
	v_mul_lo_u16 v49, v47, 14
	v_mul_lo_u16 v29, 0x93, v29
	;; [unrolled: 1-line block ×3, first 2 shown]
	v_sub_nc_u16 v66, v15, v31
	ds_read2_b32 v[31:32], v25 offset0:16 offset1:32
	v_sub_nc_u16 v26, v26, v49
	v_lshrrev_b16 v63, 10, v29
	v_and_b32_e32 v29, 0xffff, v37
	v_lshrrev_b16 v37, 10, v62
	v_lshrrev_b16 v49, 1, v21
	v_bfi_b32 v44, 0xffff, v56, v44
	v_mul_lo_u16 v52, v63, 14
	v_mad_u32_u24 v29, v29, 56, 0
	v_bfi_b32 v42, 0xffff, v54, v42
	v_mul_lo_u16 v49, 0x93, v49
	v_bfi_b32 v43, 0xffff, v67, v43
	v_bfi_b32 v40, 0xffff, v48, v40
	v_add3_u32 v53, v29, v53, v13
	v_mul_lo_u16 v29, v37, 14
	v_lshrrev_b16 v49, 10, v49
	v_bfi_b32 v50, 0xffff, v58, v50
	v_bfi_b32 v41, 0xffff, v65, v41
	v_pk_add_f16 v44, v61, v44 neg_lo:[0,1] neg_hi:[0,1]
	v_sub_nc_u16 v64, v19, v29
	ds_read2_b32 v[29:30], v25 offset0:80 offset1:96
	v_mul_lo_u16 v62, v49, 14
	v_sub_nc_u16 v52, v18, v52
	s_waitcnt lgkmcnt(1)
	v_pk_add_f16 v42, v32, v42 neg_lo:[0,1] neg_hi:[0,1]
	v_pk_add_f16 v43, v33, v43 neg_lo:[0,1] neg_hi:[0,1]
	;; [unrolled: 1-line block ×3, first 2 shown]
	v_sub_nc_u16 v56, v20, v62
	v_lshlrev_b32_sdwa v62, v17, v26 dst_sel:DWORD dst_unused:UNUSED_PAD src0_sel:DWORD src1_sel:BYTE_0
	v_bfi_b32 v26, 0xffff, v51, v45
	v_lshlrev_b32_sdwa v58, v17, v64 dst_sel:DWORD dst_unused:UNUSED_PAD src0_sel:DWORD src1_sel:BYTE_0
	v_pk_fma_f16 v48, v61, 2.0, v44 op_sel_hi:[1,0,1] neg_lo:[0,0,1] neg_hi:[0,0,1]
	v_lshlrev_b32_sdwa v52, v17, v52 dst_sel:DWORD dst_unused:UNUSED_PAD src0_sel:DWORD src1_sel:BYTE_0
	v_lshlrev_b32_sdwa v64, v17, v66 dst_sel:DWORD dst_unused:UNUSED_PAD src0_sel:DWORD src1_sel:BYTE_0
	v_pk_add_f16 v26, v31, v26 neg_lo:[0,1] neg_hi:[0,1]
	v_pk_fma_f16 v32, v32, 2.0, v42 op_sel_hi:[1,0,1] neg_lo:[0,0,1] neg_hi:[0,0,1]
	v_add_co_u32 v27, s0, s12, v27
	v_pk_fma_f16 v33, v33, 2.0, v43 op_sel_hi:[1,0,1] neg_lo:[0,0,1] neg_hi:[0,0,1]
	v_pk_fma_f16 v31, v31, 2.0, v26 op_sel_hi:[1,0,1] neg_lo:[0,0,1] neg_hi:[0,0,1]
	v_lshlrev_b32_sdwa v56, v17, v56 dst_sel:DWORD dst_unused:UNUSED_PAD src0_sel:DWORD src1_sel:BYTE_0
	s_waitcnt lgkmcnt(0)
	v_pk_add_f16 v45, v30, v50 neg_lo:[0,1] neg_hi:[0,1]
	v_pk_add_f16 v41, v29, v41 neg_lo:[0,1] neg_hi:[0,1]
	v_pk_fma_f16 v34, v34, 2.0, v40 op_sel_hi:[1,0,1] neg_lo:[0,0,1] neg_hi:[0,0,1]
	v_add_co_ci_u32_e64 v28, s0, s13, v28, s0
	s_barrier
	buffer_gl0_inv
	v_pk_fma_f16 v30, v30, 2.0, v45 op_sel_hi:[1,0,1] neg_lo:[0,0,1] neg_hi:[0,0,1]
	v_pk_fma_f16 v29, v29, 2.0, v41 op_sel_hi:[1,0,1] neg_lo:[0,0,1] neg_hi:[0,0,1]
	ds_write2_b32 v55, v48, v44 offset1:7
	ds_write2_b32 v53, v31, v26 offset1:7
	;; [unrolled: 1-line block ×7, first 2 shown]
	s_waitcnt lgkmcnt(0)
	s_barrier
	buffer_gl0_inv
	s_clause 0x6
	global_load_dword v35, v58, s[12:13] offset:28
	global_load_dword v36, v52, s[12:13] offset:28
	;; [unrolled: 1-line block ×6, first 2 shown]
	global_load_dword v43, v[27:28], off offset:28
	v_cmp_lt_u32_e64 s0, 13, v3
	v_add_nc_u32_e32 v26, -12, v3
	v_mov_b32_e32 v27, v4
	v_lshrrev_b16 v30, 2, v22
	v_lshrrev_b16 v24, 2, v24
	v_cndmask_b32_e64 v28, 0, 0x70, s0
	v_add_co_u32 v8, s0, s12, v8
	v_add_co_ci_u32_e64 v9, s0, s13, v9, s0
	v_cmp_gt_u32_e64 s0, 28, v16
	v_lshrrev_b16 v31, 2, v21
	v_mul_lo_u16 v24, v24, 37
	v_lshlrev_b32_e32 v29, 2, v46
	v_lshrrev_b16 v45, 8, v23
	v_cndmask_b32_e64 v26, v26, v16, s0
	v_add_nc_u32_e32 v28, 0, v28
	v_lshrrev_b16 v46, 8, v24
	v_and_b32_e32 v32, 0xffff, v49
	v_mul_lo_u16 v33, v45, 28
	v_lshlrev_b64 v[21:22], 2, v[26:27]
	v_mul_lo_u16 v27, v30, 37
	v_mul_lo_u16 v30, v31, 37
	;; [unrolled: 1-line block ×3, first 2 shown]
	v_add3_u32 v44, v28, v29, v13
	v_and_b32_e32 v28, 0xffff, v47
	v_lshrrev_b16 v23, 8, v27
	v_lshrrev_b16 v24, 8, v30
	v_and_b32_e32 v27, 0xffff, v59
	v_and_b32_e32 v31, 0xffff, v37
	v_sub_nc_u16 v19, v19, v34
	v_mul_lo_u16 v23, v23, 28
	v_mul_lo_u16 v24, v24, 28
	v_mad_u32_u24 v37, 0x70, v27, 0
	v_sub_nc_u16 v27, v15, v33
	v_mad_u32_u24 v47, 0x70, v28, 0
	v_sub_nc_u16 v33, v18, v23
	v_sub_nc_u16 v20, v20, v24
	v_lshlrev_b32_sdwa v48, v17, v19 dst_sel:DWORD dst_unused:UNUSED_PAD src0_sel:DWORD src1_sel:BYTE_0
	ds_read2_b32 v[18:19], v14 offset0:176 offset1:192
	ds_read2_b32 v[23:24], v14 offset0:144 offset1:160
	v_lshlrev_b32_sdwa v50, v17, v27 dst_sel:DWORD dst_unused:UNUSED_PAD src0_sel:DWORD src1_sel:BYTE_0
	v_lshlrev_b32_sdwa v49, v17, v20 dst_sel:DWORD dst_unused:UNUSED_PAD src0_sel:DWORD src1_sel:BYTE_0
	ds_read_b32 v20, v14 offset:832
	ds_read2_b32 v[27:28], v14 offset0:112 offset1:128
	v_and_b32_e32 v29, 0xffff, v60
	v_and_b32_e32 v30, 0xffff, v63
	v_mad_u32_u24 v31, 0x70, v31, 0
	v_mad_u32_u24 v32, 0x70, v32, 0
	v_lshlrev_b32_sdwa v51, v17, v33 dst_sel:DWORD dst_unused:UNUSED_PAD src0_sel:DWORD src1_sel:BYTE_0
	v_mad_u32_u24 v29, 0x70, v29, 0
	v_mad_u32_u24 v30, 0x70, v30, 0
	v_add3_u32 v17, v37, v38, v13
	v_add3_u32 v37, v47, v62, v13
	;; [unrolled: 1-line block ×6, first 2 shown]
	ds_read_b32 v54, v12
	ds_read2_b32 v[29:30], v25 offset0:16 offset1:32
	ds_read2_b32 v[31:32], v25 offset0:80 offset1:96
	;; [unrolled: 1-line block ×3, first 2 shown]
	v_add_co_u32 v10, s0, s12, v10
	v_add_co_ci_u32_e64 v11, s0, s13, v11, s0
	v_add_co_u32 v21, s0, s12, v21
	v_add_co_ci_u32_e64 v22, s0, s13, v22, s0
	s_waitcnt vmcnt(0) lgkmcnt(0)
	s_barrier
	buffer_gl0_inv
	v_cmp_lt_u32_e64 s0, 27, v16
	v_add_nc_u32_e32 v3, -8, v3
	v_cndmask_b32_e64 v16, 0, 0xe0, s0
	v_cmp_gt_u32_e64 s0, 56, v15
	v_add_nc_u32_e32 v16, 0, v16
	v_cndmask_b32_e64 v3, v3, v15, s0
	v_pk_mul_f16 v55, v19, v35 op_sel:[0,1]
	v_pk_mul_f16 v56, v36, v18 op_sel:[0,1]
	v_pk_mul_f16 v57, v39, v24 op_sel:[0,1]
	v_pk_mul_f16 v58, v40, v23 op_sel:[0,1]
	v_pk_mul_f16 v59, v20, v41 op_sel:[0,1]
	v_pk_mul_f16 v60, v42, v28 op_sel:[0,1]
	v_pk_mul_f16 v61, v43, v27 op_sel:[0,1]
	v_pk_fma_f16 v62, v19, v35, v55 op_sel:[0,0,1] op_sel_hi:[1,1,0] neg_lo:[0,0,1] neg_hi:[0,0,1]
	v_pk_fma_f16 v19, v19, v35, v55 op_sel:[0,0,1] op_sel_hi:[1,0,0]
	v_pk_fma_f16 v35, v36, v18, v56 op_sel:[0,0,1] op_sel_hi:[1,1,0] neg_lo:[0,0,1] neg_hi:[0,0,1]
	v_pk_fma_f16 v18, v36, v18, v56 op_sel:[0,0,1] op_sel_hi:[1,0,0]
	;; [unrolled: 2-line block ×7, first 2 shown]
	v_bfi_b32 v23, 0xffff, v39, v23
	v_bfi_b32 v24, 0xffff, v36, v24
	;; [unrolled: 1-line block ×7, first 2 shown]
	v_pk_add_f16 v28, v29, v28 neg_lo:[0,1] neg_hi:[0,1]
	v_pk_add_f16 v23, v30, v23 neg_lo:[0,1] neg_hi:[0,1]
	;; [unrolled: 1-line block ×7, first 2 shown]
	v_pk_fma_f16 v35, v54, 2.0, v27 op_sel_hi:[1,0,1] neg_lo:[0,0,1] neg_hi:[0,0,1]
	v_pk_fma_f16 v29, v29, 2.0, v28 op_sel_hi:[1,0,1] neg_lo:[0,0,1] neg_hi:[0,0,1]
	;; [unrolled: 1-line block ×7, first 2 shown]
	ds_write2_b32 v44, v35, v27 offset1:14
	ds_write2_b32 v17, v29, v28 offset1:14
	;; [unrolled: 1-line block ×7, first 2 shown]
	s_waitcnt lgkmcnt(0)
	s_barrier
	buffer_gl0_inv
	s_clause 0x6
	global_load_dword v24, v[8:9], off offset:84
	global_load_dword v32, v[10:11], off offset:100
	global_load_dword v33, v50, s[12:13] offset:84
	global_load_dword v34, v49, s[12:13] offset:84
	;; [unrolled: 1-line block ×4, first 2 shown]
	global_load_dword v37, v[21:22], off offset:84
	v_lshlrev_b32_e32 v17, 2, v26
	v_and_b32_e32 v18, 0xffff, v45
	v_and_b32_e32 v19, 0xffff, v46
	v_add3_u32 v41, 0, v51, v13
	v_add3_u32 v43, 0, v49, v13
	;; [unrolled: 1-line block ×3, first 2 shown]
	v_mad_u32_u24 v26, 0xe0, v18, 0
	v_mad_u32_u24 v27, 0xe0, v19, 0
	ds_read2_b32 v[16:17], v14 offset0:112 offset1:128
	ds_read2_b32 v[18:19], v14 offset0:144 offset1:160
	ds_read_b32 v39, v14 offset:832
	ds_read2_b32 v[20:21], v14 offset0:176 offset1:192
	v_lshlrev_b64 v[22:23], 2, v[3:4]
	v_lshlrev_b32_e32 v3, 2, v3
	v_add3_u32 v40, v26, v50, v13
	v_add3_u32 v42, v27, v48, v13
	ds_read_b32 v44, v12
	ds_read2_b32 v[26:27], v25 offset0:16 offset1:32
	ds_read2_b32 v[28:29], v25 offset0:48 offset1:64
	;; [unrolled: 1-line block ×3, first 2 shown]
	s_waitcnt vmcnt(0) lgkmcnt(0)
	v_add_co_u32 v22, s0, s12, v22
	v_add_co_ci_u32_e64 v23, s0, s13, v23, s0
	s_barrier
	buffer_gl0_inv
	v_cmp_lt_u32_e64 s0, 55, v15
	v_cndmask_b32_e64 v15, 0, 0x1c0, s0
	v_add_nc_u32_e32 v15, 0, v15
	v_add3_u32 v3, v15, v3, v13
	v_pk_mul_f16 v45, v24, v16 op_sel:[0,1]
	v_pk_mul_f16 v46, v32, v18 op_sel:[0,1]
	;; [unrolled: 1-line block ×7, first 2 shown]
	v_pk_fma_f16 v52, v24, v16, v45 op_sel:[0,0,1] op_sel_hi:[1,1,0] neg_lo:[0,0,1] neg_hi:[0,0,1]
	v_pk_fma_f16 v16, v24, v16, v45 op_sel:[0,0,1] op_sel_hi:[1,0,0]
	v_pk_fma_f16 v24, v32, v18, v46 op_sel:[0,0,1] op_sel_hi:[1,1,0] neg_lo:[0,0,1] neg_hi:[0,0,1]
	v_pk_fma_f16 v18, v32, v18, v46 op_sel:[0,0,1] op_sel_hi:[1,0,0]
	;; [unrolled: 2-line block ×7, first 2 shown]
	v_bfi_b32 v16, 0xffff, v52, v16
	v_bfi_b32 v18, 0xffff, v24, v18
	;; [unrolled: 1-line block ×7, first 2 shown]
	v_pk_add_f16 v16, v44, v16 neg_lo:[0,1] neg_hi:[0,1]
	v_pk_add_f16 v18, v27, v18 neg_lo:[0,1] neg_hi:[0,1]
	;; [unrolled: 1-line block ×7, first 2 shown]
	v_pk_fma_f16 v32, v44, 2.0, v16 op_sel_hi:[1,0,1] neg_lo:[0,0,1] neg_hi:[0,0,1]
	v_pk_fma_f16 v26, v26, 2.0, v17 op_sel_hi:[1,0,1] neg_lo:[0,0,1] neg_hi:[0,0,1]
	;; [unrolled: 1-line block ×7, first 2 shown]
	ds_write2_b32 v14, v32, v16 offset1:28
	ds_write2_b32 v38, v26, v17 offset1:28
	ds_write2_b32 v14, v27, v18 offset0:60 offset1:88
	ds_write2_b32 v40, v28, v19 offset1:28
	ds_write2_b32 v41, v29, v20 offset0:112 offset1:140
	;; [unrolled: 2-line block ×3, first 2 shown]
	s_waitcnt lgkmcnt(0)
	s_barrier
	buffer_gl0_inv
	s_clause 0x6
	global_load_dword v24, v[8:9], off offset:196
	global_load_dword v30, v[10:11], off offset:260
	;; [unrolled: 1-line block ×7, first 2 shown]
	ds_read2_b32 v[16:17], v14 offset0:112 offset1:128
	ds_read2_b32 v[18:19], v14 offset0:144 offset1:160
	;; [unrolled: 1-line block ×3, first 2 shown]
	ds_read_b32 v36, v14 offset:832
	ds_read_b32 v13, v12
	ds_read2_b32 v[22:23], v25 offset0:16 offset1:32
	ds_read2_b32 v[26:27], v25 offset0:48 offset1:64
	;; [unrolled: 1-line block ×3, first 2 shown]
	s_waitcnt vmcnt(0) lgkmcnt(0)
	s_barrier
	buffer_gl0_inv
	v_pk_mul_f16 v15, v24, v16 op_sel:[0,1]
	v_pk_mul_f16 v37, v30, v17 op_sel:[0,1]
	;; [unrolled: 1-line block ×7, first 2 shown]
	v_pk_fma_f16 v43, v24, v16, v15 op_sel:[0,0,1] op_sel_hi:[1,1,0] neg_lo:[0,0,1] neg_hi:[0,0,1]
	v_pk_fma_f16 v15, v24, v16, v15 op_sel:[0,0,1] op_sel_hi:[1,0,0]
	v_pk_fma_f16 v16, v30, v17, v37 op_sel:[0,0,1] op_sel_hi:[1,1,0] neg_lo:[0,0,1] neg_hi:[0,0,1]
	v_pk_fma_f16 v17, v30, v17, v37 op_sel:[0,0,1] op_sel_hi:[1,0,0]
	;; [unrolled: 2-line block ×7, first 2 shown]
	v_bfi_b32 v15, 0xffff, v43, v15
	v_bfi_b32 v16, 0xffff, v16, v17
	;; [unrolled: 1-line block ×7, first 2 shown]
	v_pk_add_f16 v15, v13, v15 neg_lo:[0,1] neg_hi:[0,1]
	v_pk_add_f16 v16, v22, v16 neg_lo:[0,1] neg_hi:[0,1]
	;; [unrolled: 1-line block ×7, first 2 shown]
	v_pk_fma_f16 v13, v13, 2.0, v15 op_sel_hi:[1,0,1] neg_lo:[0,0,1] neg_hi:[0,0,1]
	v_pk_fma_f16 v22, v22, 2.0, v16 op_sel_hi:[1,0,1] neg_lo:[0,0,1] neg_hi:[0,0,1]
	;; [unrolled: 1-line block ×7, first 2 shown]
	ds_write2_b32 v14, v13, v15 offset1:56
	ds_write2_b32 v25, v22, v23 offset0:16 offset1:32
	ds_write2_b32 v25, v16, v17 offset0:72 offset1:88
	ds_write2_b32 v3, v26, v19 offset1:56
	ds_write2_b32 v14, v24, v27 offset0:120 offset1:136
	ds_write2_b32 v14, v28, v18 offset0:152 offset1:176
	;; [unrolled: 1-line block ×3, first 2 shown]
	s_waitcnt lgkmcnt(0)
	s_barrier
	buffer_gl0_inv
	s_clause 0x6
	global_load_dword v3, v[8:9], off offset:420
	global_load_dword v21, v[10:11], off offset:484
	;; [unrolled: 1-line block ×7, first 2 shown]
	ds_read2_b32 v[8:9], v14 offset0:112 offset1:128
	ds_read2_b32 v[10:11], v14 offset0:144 offset1:160
	;; [unrolled: 1-line block ×3, first 2 shown]
	ds_read_b32 v28, v14 offset:832
	ds_read_b32 v29, v12
	ds_read2_b32 v[12:13], v25 offset0:16 offset1:32
	ds_read2_b32 v[17:18], v25 offset0:48 offset1:64
	;; [unrolled: 1-line block ×3, first 2 shown]
	s_waitcnt vmcnt(0) lgkmcnt(0)
	s_barrier
	buffer_gl0_inv
	v_pk_mul_f16 v30, v3, v8 op_sel:[0,1]
	v_pk_mul_f16 v31, v21, v9 op_sel:[0,1]
	;; [unrolled: 1-line block ×7, first 2 shown]
	v_pk_fma_f16 v37, v3, v8, v30 op_sel:[0,0,1] op_sel_hi:[1,1,0] neg_lo:[0,0,1] neg_hi:[0,0,1]
	v_pk_fma_f16 v3, v3, v8, v30 op_sel:[0,0,1] op_sel_hi:[1,0,0]
	v_pk_fma_f16 v8, v21, v9, v31 op_sel:[0,0,1] op_sel_hi:[1,1,0] neg_lo:[0,0,1] neg_hi:[0,0,1]
	v_pk_fma_f16 v9, v21, v9, v31 op_sel:[0,0,1] op_sel_hi:[1,0,0]
	;; [unrolled: 2-line block ×7, first 2 shown]
	v_bfi_b32 v3, 0xffff, v37, v3
	v_bfi_b32 v8, 0xffff, v8, v9
	;; [unrolled: 1-line block ×7, first 2 shown]
	v_pk_add_f16 v3, v29, v3 neg_lo:[0,1] neg_hi:[0,1]
	v_pk_add_f16 v8, v12, v8 neg_lo:[0,1] neg_hi:[0,1]
	;; [unrolled: 1-line block ×7, first 2 shown]
	v_pk_fma_f16 v21, v29, 2.0, v3 op_sel_hi:[1,0,1] neg_lo:[0,0,1] neg_hi:[0,0,1]
	v_pk_fma_f16 v12, v12, 2.0, v8 op_sel_hi:[1,0,1] neg_lo:[0,0,1] neg_hi:[0,0,1]
	;; [unrolled: 1-line block ×7, first 2 shown]
	ds_write2_b32 v14, v21, v3 offset1:112
	ds_write2_b32 v25, v12, v13 offset0:16 offset1:32
	ds_write2_b32 v25, v8, v9 offset0:128 offset1:144
	;; [unrolled: 1-line block ×6, first 2 shown]
	s_waitcnt lgkmcnt(0)
	s_barrier
	buffer_gl0_inv
	s_and_saveexec_b32 s0, vcc_lo
	s_cbranch_execz .LBB0_21
; %bb.20:
	v_mul_lo_u32 v9, s3, v5
	v_mul_lo_u32 v10, s2, v6
	v_mad_u64_u32 v[5:6], null, s2, v5, 0
	v_lshl_add_u32 v20, v7, 2, v0
	v_add_nc_u32_e32 v3, 16, v7
	v_mov_b32_e32 v8, v4
	v_lshlrev_b64 v[0:1], 2, v[1:2]
	ds_read2_b32 v[11:12], v20 offset1:16
	v_add3_u32 v6, v6, v10, v9
	v_lshlrev_b64 v[9:10], 2, v[3:4]
	v_add_nc_u32_e32 v3, 32, v7
	v_lshlrev_b64 v[13:14], 2, v[7:8]
	ds_read2_b32 v[15:16], v20 offset0:32 offset1:48
	v_lshlrev_b64 v[5:6], 2, v[5:6]
	v_lshlrev_b64 v[17:18], 2, v[3:4]
	v_add_nc_u32_e32 v3, 48, v7
	v_add_co_u32 v2, vcc_lo, s10, v5
	v_add_co_ci_u32_e32 v5, vcc_lo, s11, v6, vcc_lo
	v_add_co_u32 v21, vcc_lo, v2, v0
	v_add_co_ci_u32_e32 v22, vcc_lo, v5, v1, vcc_lo
	v_lshlrev_b64 v[0:1], 2, v[3:4]
	v_add_co_u32 v2, vcc_lo, v21, v13
	v_add_co_ci_u32_e32 v3, vcc_lo, v22, v14, vcc_lo
	v_add_co_u32 v5, vcc_lo, v21, v9
	ds_read2_b32 v[8:9], v20 offset0:64 offset1:80
	s_waitcnt lgkmcnt(2)
	global_store_dword v[2:3], v11, off
	v_add_nc_u32_e32 v3, 64, v7
	v_add_co_ci_u32_e32 v6, vcc_lo, v22, v10, vcc_lo
	v_add_co_u32 v10, vcc_lo, v21, v17
	v_lshlrev_b64 v[13:14], 2, v[3:4]
	v_add_nc_u32_e32 v3, 0x50, v7
	v_add_co_ci_u32_e32 v11, vcc_lo, v22, v18, vcc_lo
	v_add_co_u32 v0, vcc_lo, v21, v0
	v_add_co_ci_u32_e32 v1, vcc_lo, v22, v1, vcc_lo
	v_lshlrev_b64 v[17:18], 2, v[3:4]
	v_add_nc_u32_e32 v3, 0x60, v7
	v_add_co_u32 v13, vcc_lo, v21, v13
	v_add_co_ci_u32_e32 v14, vcc_lo, v22, v14, vcc_lo
	global_store_dword v[5:6], v12, off
	s_waitcnt lgkmcnt(1)
	global_store_dword v[10:11], v15, off
	global_store_dword v[0:1], v16, off
	s_waitcnt lgkmcnt(0)
	global_store_dword v[13:14], v8, off
	v_lshlrev_b64 v[0:1], 2, v[3:4]
	v_add_nc_u32_e32 v3, 0x70, v7
	ds_read2_b32 v[10:11], v20 offset0:96 offset1:112
	ds_read2_b32 v[14:15], v20 offset0:128 offset1:144
	v_add_co_u32 v5, vcc_lo, v21, v17
	v_lshlrev_b64 v[12:13], 2, v[3:4]
	v_add_nc_u32_e32 v3, 0x80, v7
	v_add_co_ci_u32_e32 v6, vcc_lo, v22, v18, vcc_lo
	v_add_co_u32 v0, vcc_lo, v21, v0
	v_lshlrev_b64 v[16:17], 2, v[3:4]
	v_add_nc_u32_e32 v3, 0x90, v7
	v_add_co_ci_u32_e32 v1, vcc_lo, v22, v1, vcc_lo
	v_add_co_u32 v12, vcc_lo, v21, v12
	v_add_co_ci_u32_e32 v13, vcc_lo, v22, v13, vcc_lo
	v_lshlrev_b64 v[18:19], 2, v[3:4]
	v_add_nc_u32_e32 v3, 0xa0, v7
	v_add_co_u32 v16, vcc_lo, v21, v16
	v_add_co_ci_u32_e32 v17, vcc_lo, v22, v17, vcc_lo
	global_store_dword v[5:6], v9, off
	s_waitcnt lgkmcnt(1)
	global_store_dword v[0:1], v10, off
	global_store_dword v[12:13], v11, off
	s_waitcnt lgkmcnt(0)
	global_store_dword v[16:17], v14, off
	v_lshlrev_b64 v[0:1], 2, v[3:4]
	v_add_nc_u32_e32 v3, 0xb0, v7
	ds_read2_b32 v[8:9], v20 offset0:160 offset1:176
	ds_read2_b32 v[12:13], v20 offset0:192 offset1:208
	v_add_co_u32 v5, vcc_lo, v21, v18
	v_lshlrev_b64 v[10:11], 2, v[3:4]
	v_add_nc_u32_e32 v3, 0xc0, v7
	v_add_co_ci_u32_e32 v6, vcc_lo, v22, v19, vcc_lo
	v_add_co_u32 v0, vcc_lo, v21, v0
	v_lshlrev_b64 v[16:17], 2, v[3:4]
	v_add_nc_u32_e32 v3, 0xd0, v7
	v_add_co_ci_u32_e32 v1, vcc_lo, v22, v1, vcc_lo
	v_add_co_u32 v10, vcc_lo, v21, v10
	v_lshlrev_b64 v[2:3], 2, v[3:4]
	v_add_co_ci_u32_e32 v11, vcc_lo, v22, v11, vcc_lo
	v_add_co_u32 v16, vcc_lo, v21, v16
	v_add_co_ci_u32_e32 v17, vcc_lo, v22, v17, vcc_lo
	v_add_co_u32 v2, vcc_lo, v21, v2
	v_add_co_ci_u32_e32 v3, vcc_lo, v22, v3, vcc_lo
	global_store_dword v[5:6], v15, off
	s_waitcnt lgkmcnt(1)
	global_store_dword v[0:1], v8, off
	global_store_dword v[10:11], v9, off
	s_waitcnt lgkmcnt(0)
	global_store_dword v[16:17], v12, off
	global_store_dword v[2:3], v13, off
.LBB0_21:
	s_endpgm
	.section	.rodata,"a",@progbits
	.p2align	6, 0x0
	.amdhsa_kernel fft_rtc_fwd_len224_factors_7_2_2_2_2_2_wgs_64_tpt_16_halfLds_half_op_CI_CI_unitstride_sbrr_C2R_dirReg
		.amdhsa_group_segment_fixed_size 0
		.amdhsa_private_segment_fixed_size 0
		.amdhsa_kernarg_size 104
		.amdhsa_user_sgpr_count 6
		.amdhsa_user_sgpr_private_segment_buffer 1
		.amdhsa_user_sgpr_dispatch_ptr 0
		.amdhsa_user_sgpr_queue_ptr 0
		.amdhsa_user_sgpr_kernarg_segment_ptr 1
		.amdhsa_user_sgpr_dispatch_id 0
		.amdhsa_user_sgpr_flat_scratch_init 0
		.amdhsa_user_sgpr_private_segment_size 0
		.amdhsa_wavefront_size32 1
		.amdhsa_uses_dynamic_stack 0
		.amdhsa_system_sgpr_private_segment_wavefront_offset 0
		.amdhsa_system_sgpr_workgroup_id_x 1
		.amdhsa_system_sgpr_workgroup_id_y 0
		.amdhsa_system_sgpr_workgroup_id_z 0
		.amdhsa_system_sgpr_workgroup_info 0
		.amdhsa_system_vgpr_workitem_id 0
		.amdhsa_next_free_vgpr 69
		.amdhsa_next_free_sgpr 27
		.amdhsa_reserve_vcc 1
		.amdhsa_reserve_flat_scratch 0
		.amdhsa_float_round_mode_32 0
		.amdhsa_float_round_mode_16_64 0
		.amdhsa_float_denorm_mode_32 3
		.amdhsa_float_denorm_mode_16_64 3
		.amdhsa_dx10_clamp 1
		.amdhsa_ieee_mode 1
		.amdhsa_fp16_overflow 0
		.amdhsa_workgroup_processor_mode 1
		.amdhsa_memory_ordered 1
		.amdhsa_forward_progress 0
		.amdhsa_shared_vgpr_count 0
		.amdhsa_exception_fp_ieee_invalid_op 0
		.amdhsa_exception_fp_denorm_src 0
		.amdhsa_exception_fp_ieee_div_zero 0
		.amdhsa_exception_fp_ieee_overflow 0
		.amdhsa_exception_fp_ieee_underflow 0
		.amdhsa_exception_fp_ieee_inexact 0
		.amdhsa_exception_int_div_zero 0
	.end_amdhsa_kernel
	.text
.Lfunc_end0:
	.size	fft_rtc_fwd_len224_factors_7_2_2_2_2_2_wgs_64_tpt_16_halfLds_half_op_CI_CI_unitstride_sbrr_C2R_dirReg, .Lfunc_end0-fft_rtc_fwd_len224_factors_7_2_2_2_2_2_wgs_64_tpt_16_halfLds_half_op_CI_CI_unitstride_sbrr_C2R_dirReg
                                        ; -- End function
	.section	.AMDGPU.csdata,"",@progbits
; Kernel info:
; codeLenInByte = 9296
; NumSgprs: 29
; NumVgprs: 69
; ScratchSize: 0
; MemoryBound: 0
; FloatMode: 240
; IeeeMode: 1
; LDSByteSize: 0 bytes/workgroup (compile time only)
; SGPRBlocks: 3
; VGPRBlocks: 8
; NumSGPRsForWavesPerEU: 29
; NumVGPRsForWavesPerEU: 69
; Occupancy: 12
; WaveLimiterHint : 1
; COMPUTE_PGM_RSRC2:SCRATCH_EN: 0
; COMPUTE_PGM_RSRC2:USER_SGPR: 6
; COMPUTE_PGM_RSRC2:TRAP_HANDLER: 0
; COMPUTE_PGM_RSRC2:TGID_X_EN: 1
; COMPUTE_PGM_RSRC2:TGID_Y_EN: 0
; COMPUTE_PGM_RSRC2:TGID_Z_EN: 0
; COMPUTE_PGM_RSRC2:TIDIG_COMP_CNT: 0
	.text
	.p2alignl 6, 3214868480
	.fill 48, 4, 3214868480
	.type	__hip_cuid_3a6799db1854a3cb,@object ; @__hip_cuid_3a6799db1854a3cb
	.section	.bss,"aw",@nobits
	.globl	__hip_cuid_3a6799db1854a3cb
__hip_cuid_3a6799db1854a3cb:
	.byte	0                               ; 0x0
	.size	__hip_cuid_3a6799db1854a3cb, 1

	.ident	"AMD clang version 19.0.0git (https://github.com/RadeonOpenCompute/llvm-project roc-6.4.0 25133 c7fe45cf4b819c5991fe208aaa96edf142730f1d)"
	.section	".note.GNU-stack","",@progbits
	.addrsig
	.addrsig_sym __hip_cuid_3a6799db1854a3cb
	.amdgpu_metadata
---
amdhsa.kernels:
  - .args:
      - .actual_access:  read_only
        .address_space:  global
        .offset:         0
        .size:           8
        .value_kind:     global_buffer
      - .offset:         8
        .size:           8
        .value_kind:     by_value
      - .actual_access:  read_only
        .address_space:  global
        .offset:         16
        .size:           8
        .value_kind:     global_buffer
      - .actual_access:  read_only
        .address_space:  global
        .offset:         24
        .size:           8
        .value_kind:     global_buffer
      - .actual_access:  read_only
        .address_space:  global
        .offset:         32
        .size:           8
        .value_kind:     global_buffer
      - .offset:         40
        .size:           8
        .value_kind:     by_value
      - .actual_access:  read_only
        .address_space:  global
        .offset:         48
        .size:           8
        .value_kind:     global_buffer
      - .actual_access:  read_only
        .address_space:  global
        .offset:         56
        .size:           8
        .value_kind:     global_buffer
      - .offset:         64
        .size:           4
        .value_kind:     by_value
      - .actual_access:  read_only
        .address_space:  global
        .offset:         72
        .size:           8
        .value_kind:     global_buffer
      - .actual_access:  read_only
        .address_space:  global
        .offset:         80
        .size:           8
        .value_kind:     global_buffer
      - .actual_access:  read_only
        .address_space:  global
        .offset:         88
        .size:           8
        .value_kind:     global_buffer
      - .actual_access:  write_only
        .address_space:  global
        .offset:         96
        .size:           8
        .value_kind:     global_buffer
    .group_segment_fixed_size: 0
    .kernarg_segment_align: 8
    .kernarg_segment_size: 104
    .language:       OpenCL C
    .language_version:
      - 2
      - 0
    .max_flat_workgroup_size: 64
    .name:           fft_rtc_fwd_len224_factors_7_2_2_2_2_2_wgs_64_tpt_16_halfLds_half_op_CI_CI_unitstride_sbrr_C2R_dirReg
    .private_segment_fixed_size: 0
    .sgpr_count:     29
    .sgpr_spill_count: 0
    .symbol:         fft_rtc_fwd_len224_factors_7_2_2_2_2_2_wgs_64_tpt_16_halfLds_half_op_CI_CI_unitstride_sbrr_C2R_dirReg.kd
    .uniform_work_group_size: 1
    .uses_dynamic_stack: false
    .vgpr_count:     69
    .vgpr_spill_count: 0
    .wavefront_size: 32
    .workgroup_processor_mode: 1
amdhsa.target:   amdgcn-amd-amdhsa--gfx1030
amdhsa.version:
  - 1
  - 2
...

	.end_amdgpu_metadata
